;; amdgpu-corpus repo=ROCm/rocFFT kind=compiled arch=gfx906 opt=O3
	.text
	.amdgcn_target "amdgcn-amd-amdhsa--gfx906"
	.amdhsa_code_object_version 6
	.protected	bluestein_single_fwd_len1568_dim1_dp_op_CI_CI ; -- Begin function bluestein_single_fwd_len1568_dim1_dp_op_CI_CI
	.globl	bluestein_single_fwd_len1568_dim1_dp_op_CI_CI
	.p2align	8
	.type	bluestein_single_fwd_len1568_dim1_dp_op_CI_CI,@function
bluestein_single_fwd_len1568_dim1_dp_op_CI_CI: ; @bluestein_single_fwd_len1568_dim1_dp_op_CI_CI
; %bb.0:
	s_load_dwordx4 s[8:11], s[4:5], 0x28
	v_mul_u32_u24_e32 v1, 0x125, v0
	v_add_u32_sdwa v120, s6, v1 dst_sel:DWORD dst_unused:UNUSED_PAD src0_sel:DWORD src1_sel:WORD_1
	v_mov_b32_e32 v121, 0
	s_waitcnt lgkmcnt(0)
	v_cmp_gt_u64_e32 vcc, s[8:9], v[120:121]
	s_and_saveexec_b64 s[0:1], vcc
	s_cbranch_execz .LBB0_47
; %bb.1:
	s_load_dwordx4 s[12:15], s[4:5], 0x18
	s_movk_i32 s6, 0xe0
	v_mul_lo_u16_sdwa v1, v1, s6 dst_sel:DWORD dst_unused:UNUSED_PAD src0_sel:WORD_1 src1_sel:DWORD
	v_sub_u16_e32 v124, v0, v1
	v_lshlrev_b32_e32 v121, 4, v124
	s_waitcnt lgkmcnt(0)
	s_load_dwordx4 s[0:3], s[12:13], 0x0
	s_waitcnt lgkmcnt(0)
	v_mad_u64_u32 v[0:1], s[6:7], s2, v120, 0
	v_mad_u64_u32 v[2:3], s[6:7], s0, v124, 0
	s_load_dwordx2 s[12:13], s[4:5], 0x0
	s_mul_i32 s6, s1, 0x310
	v_mad_u64_u32 v[4:5], s[2:3], s3, v120, v[1:2]
	s_mul_hi_u32 s7, s0, 0x310
	s_add_i32 s7, s7, s6
	v_mad_u64_u32 v[5:6], s[2:3], s1, v124, v[3:4]
	v_mov_b32_e32 v1, v4
	v_lshlrev_b64 v[0:1], 4, v[0:1]
	v_mov_b32_e32 v6, s11
	v_mov_b32_e32 v3, v5
	v_add_co_u32_e32 v4, vcc, s10, v0
	v_addc_co_u32_e32 v5, vcc, v6, v1, vcc
	v_lshlrev_b64 v[0:1], 4, v[2:3]
	s_waitcnt lgkmcnt(0)
	v_mov_b32_e32 v2, s13
	v_add_co_u32_e32 v0, vcc, v4, v0
	v_add_co_u32_e64 v122, s[2:3], s12, v121
	s_mul_i32 s6, s0, 0x310
	v_addc_co_u32_e32 v1, vcc, v5, v1, vcc
	v_addc_co_u32_e64 v123, vcc, 0, v2, s[2:3]
	s_lshl_b64 s[16:17], s[6:7], 4
	v_mov_b32_e32 v14, s17
	v_add_co_u32_e32 v2, vcc, s16, v0
	v_addc_co_u32_e32 v3, vcc, v1, v14, vcc
	s_movk_i32 s6, 0x3000
	v_add_co_u32_e32 v8, vcc, s6, v122
	s_mul_hi_u32 s6, s0, 0xfffffdd0
	s_mulk_i32 s1, 0xfdd0
	s_sub_i32 s6, s6, s0
	s_add_i32 s1, s6, s1
	s_mulk_i32 s0, 0xfdd0
	v_addc_co_u32_e32 v9, vcc, 0, v123, vcc
	s_lshl_b64 s[18:19], s[0:1], 4
	v_mov_b32_e32 v15, s19
	v_add_co_u32_e32 v10, vcc, s18, v2
	v_addc_co_u32_e32 v11, vcc, v3, v15, vcc
	v_add_co_u32_e32 v12, vcc, s16, v10
	v_addc_co_u32_e32 v13, vcc, v11, v14, vcc
	global_load_dwordx4 v[26:29], v[0:1], off
	global_load_dwordx4 v[30:33], v[2:3], off
	global_load_dwordx4 v[20:23], v121, s[12:13]
	global_load_dwordx4 v[4:7], v121, s[12:13] offset:3584
	global_load_dwordx4 v[34:37], v[10:11], off
	global_load_dwordx4 v[38:41], v[12:13], off
	global_load_dwordx4 v[16:19], v[8:9], off offset:256
	global_load_dwordx4 v[0:3], v[8:9], off offset:3840
	v_add_co_u32_e32 v8, vcc, s18, v12
	v_addc_co_u32_e32 v9, vcc, v13, v15, vcc
	s_movk_i32 s0, 0x1000
	v_add_co_u32_e32 v50, vcc, s0, v122
	v_addc_co_u32_e32 v51, vcc, 0, v123, vcc
	v_add_co_u32_e32 v24, vcc, s16, v8
	v_addc_co_u32_e32 v25, vcc, v9, v14, vcc
	s_movk_i32 s0, 0x4000
	global_load_dwordx4 v[42:45], v[8:9], off
	v_add_co_u32_e32 v52, vcc, s0, v122
	v_addc_co_u32_e32 v53, vcc, 0, v123, vcc
	global_load_dwordx4 v[8:11], v[50:51], off offset:3072
	global_load_dwordx4 v[12:15], v[52:53], off offset:3328
	global_load_dwordx4 v[46:49], v[24:25], off
	s_load_dwordx2 s[6:7], s[4:5], 0x38
	s_load_dwordx4 s[8:11], s[14:15], 0x0
	s_movk_i32 s0, 0x70
	v_cmp_gt_u16_e64 s[0:1], s0, v124
	s_waitcnt vmcnt(9)
	v_mul_f64 v[50:51], v[28:29], v[22:23]
	v_mul_f64 v[52:53], v[26:27], v[22:23]
	s_waitcnt vmcnt(5)
	v_mul_f64 v[54:55], v[32:33], v[18:19]
	v_mul_f64 v[56:57], v[30:31], v[18:19]
	;; [unrolled: 1-line block ×4, first 2 shown]
	s_waitcnt vmcnt(4)
	v_mul_f64 v[62:63], v[40:41], v[2:3]
	v_mul_f64 v[64:65], v[38:39], v[2:3]
	v_fma_f64 v[26:27], v[26:27], v[20:21], v[50:51]
	v_fma_f64 v[28:29], v[28:29], v[20:21], -v[52:53]
	v_fma_f64 v[30:31], v[30:31], v[16:17], v[54:55]
	v_fma_f64 v[32:33], v[32:33], v[16:17], -v[56:57]
	;; [unrolled: 2-line block ×4, first 2 shown]
	s_waitcnt vmcnt(2)
	v_mul_f64 v[66:67], v[44:45], v[10:11]
	v_mul_f64 v[68:69], v[42:43], v[10:11]
	s_waitcnt vmcnt(0)
	v_mul_f64 v[70:71], v[48:49], v[14:15]
	v_mul_f64 v[72:73], v[46:47], v[14:15]
	v_fma_f64 v[42:43], v[42:43], v[8:9], v[66:67]
	v_fma_f64 v[44:45], v[44:45], v[8:9], -v[68:69]
	v_fma_f64 v[46:47], v[46:47], v[12:13], v[70:71]
	v_fma_f64 v[48:49], v[48:49], v[12:13], -v[72:73]
	ds_write_b128 v121, v[26:29]
	ds_write_b128 v121, v[30:33] offset:12544
	ds_write_b128 v121, v[34:37] offset:3584
	;; [unrolled: 1-line block ×5, first 2 shown]
	s_and_saveexec_b64 s[14:15], s[0:1]
	s_cbranch_execz .LBB0_3
; %bb.2:
	v_mov_b32_e32 v26, s19
	v_add_co_u32_e32 v32, vcc, s18, v24
	v_addc_co_u32_e32 v33, vcc, v25, v26, vcc
	v_add_co_u32_e32 v28, vcc, 0x2000, v122
	v_addc_co_u32_e32 v29, vcc, 0, v123, vcc
	v_mov_b32_e32 v34, s17
	v_add_co_u32_e32 v40, vcc, s16, v32
	v_addc_co_u32_e32 v41, vcc, v33, v34, vcc
	s_movk_i32 s12, 0x5000
	v_add_co_u32_e32 v42, vcc, s12, v122
	global_load_dwordx4 v[24:27], v[32:33], off
	v_addc_co_u32_e32 v43, vcc, 0, v123, vcc
	global_load_dwordx4 v[28:31], v[28:29], off offset:2560
	s_nop 0
	global_load_dwordx4 v[32:35], v[42:43], off offset:2816
	global_load_dwordx4 v[36:39], v[40:41], off
	s_waitcnt vmcnt(2)
	v_mul_f64 v[40:41], v[26:27], v[30:31]
	v_mul_f64 v[30:31], v[24:25], v[30:31]
	s_waitcnt vmcnt(0)
	v_mul_f64 v[42:43], v[38:39], v[34:35]
	v_mul_f64 v[34:35], v[36:37], v[34:35]
	v_fma_f64 v[24:25], v[24:25], v[28:29], v[40:41]
	v_fma_f64 v[26:27], v[26:27], v[28:29], -v[30:31]
	v_fma_f64 v[28:29], v[36:37], v[32:33], v[42:43]
	v_fma_f64 v[30:31], v[38:39], v[32:33], -v[34:35]
	ds_write_b128 v121, v[24:27] offset:10752
	ds_write_b128 v121, v[28:31] offset:23296
.LBB0_3:
	s_or_b64 exec, exec, s[14:15]
	s_waitcnt lgkmcnt(0)
	s_barrier
	ds_read_b128 v[24:27], v121
	ds_read_b128 v[28:31], v121 offset:3584
	ds_read_b128 v[52:55], v121 offset:12544
	;; [unrolled: 1-line block ×5, first 2 shown]
                                        ; implicit-def: $vgpr40_vgpr41
                                        ; implicit-def: $vgpr44_vgpr45
	s_and_saveexec_b64 s[14:15], s[0:1]
	s_cbranch_execz .LBB0_5
; %bb.4:
	ds_read_b128 v[40:43], v121 offset:10752
	ds_read_b128 v[44:47], v121 offset:23296
.LBB0_5:
	s_or_b64 exec, exec, s[14:15]
	s_waitcnt lgkmcnt(3)
	v_add_f64 v[52:53], v[24:25], -v[52:53]
	v_add_f64 v[54:55], v[26:27], -v[54:55]
	s_waitcnt lgkmcnt(1)
	v_add_f64 v[48:49], v[28:29], -v[48:49]
	v_add_f64 v[50:51], v[30:31], -v[50:51]
	;; [unrolled: 3-line block ×3, first 2 shown]
	v_add_f64 v[32:33], v[40:41], -v[44:45]
	v_add_f64 v[34:35], v[42:43], -v[46:47]
	v_fma_f64 v[24:25], v[24:25], 2.0, -v[52:53]
	v_fma_f64 v[26:27], v[26:27], 2.0, -v[54:55]
	;; [unrolled: 1-line block ×8, first 2 shown]
	s_load_dwordx2 s[4:5], s[4:5], 0x8
	v_lshlrev_b32_e32 v72, 1, v124
	s_movk_i32 s12, 0x2a0
	v_add_co_u32_e32 v60, vcc, s12, v124
	v_lshlrev_b32_e32 v129, 5, v124
	v_add_u32_e32 v73, 0x1c0, v72
	v_add_u32_e32 v74, 0x380, v72
	s_waitcnt lgkmcnt(0)
	s_barrier
	ds_write_b128 v129, v[24:27]
	ds_write_b128 v129, v[52:55] offset:16
	v_lshlrev_b32_e32 v130, 4, v73
	v_lshlrev_b32_e32 v24, 4, v72
	v_lshlrev_b32_e32 v131, 4, v74
	v_lshlrev_b32_e32 v128, 5, v60
	ds_write_b128 v24, v[44:47] offset:7168
	ds_write_b128 v130, v[48:51] offset:16
	;; [unrolled: 1-line block ×4, first 2 shown]
	s_and_saveexec_b64 s[14:15], s[0:1]
	s_cbranch_execz .LBB0_7
; %bb.6:
	ds_write_b128 v128, v[28:31]
	ds_write_b128 v128, v[32:35] offset:16
.LBB0_7:
	s_or_b64 exec, exec, s[14:15]
	s_waitcnt lgkmcnt(0)
	s_barrier
	ds_read_b128 v[40:43], v121
	ds_read_b128 v[44:47], v121 offset:3584
	ds_read_b128 v[36:39], v121 offset:12544
	;; [unrolled: 1-line block ×5, first 2 shown]
	s_and_saveexec_b64 s[14:15], s[0:1]
	s_cbranch_execz .LBB0_9
; %bb.8:
	ds_read_b128 v[28:31], v121 offset:10752
	ds_read_b128 v[32:35], v121 offset:23296
.LBB0_9:
	s_or_b64 exec, exec, s[14:15]
	v_and_b32_e32 v126, 1, v124
	v_lshlrev_b32_e32 v24, 4, v126
	global_load_dwordx4 v[24:27], v24, s[4:5]
	s_movk_i32 s14, 0x1fc
	s_movk_i32 s15, 0x3fc
	v_and_or_b32 v61, v72, s14, v126
	v_and_or_b32 v62, v73, s15, v126
	v_lshlrev_b32_e32 v134, 4, v61
	v_lshlrev_b32_e32 v133, 4, v62
	s_movk_i32 s12, 0x7fc
	v_and_or_b32 v71, v74, s12, v126
	v_lshlrev_b32_e32 v136, 4, v71
	v_lshlrev_b32_e32 v125, 1, v60
	s_waitcnt vmcnt(0) lgkmcnt(0)
	s_barrier
	v_mul_f64 v[61:62], v[38:39], v[26:27]
	v_mul_f64 v[63:64], v[36:37], v[26:27]
	;; [unrolled: 1-line block ×8, first 2 shown]
	v_fma_f64 v[36:37], v[36:37], v[24:25], -v[61:62]
	v_fma_f64 v[38:39], v[38:39], v[24:25], v[63:64]
	v_fma_f64 v[32:33], v[32:33], v[24:25], -v[77:78]
	v_fma_f64 v[34:35], v[34:35], v[24:25], v[79:80]
	;; [unrolled: 2-line block ×4, first 2 shown]
	v_add_f64 v[52:53], v[40:41], -v[36:37]
	v_add_f64 v[54:55], v[42:43], -v[38:39]
	;; [unrolled: 1-line block ×8, first 2 shown]
	v_fma_f64 v[40:41], v[40:41], 2.0, -v[52:53]
	v_fma_f64 v[42:43], v[42:43], 2.0, -v[54:55]
	;; [unrolled: 1-line block ×8, first 2 shown]
	ds_write_b128 v134, v[52:55] offset:32
	ds_write_b128 v134, v[40:43]
	ds_write_b128 v133, v[44:47]
	ds_write_b128 v133, v[56:59] offset:32
	ds_write_b128 v136, v[48:51]
	ds_write_b128 v136, v[61:64] offset:32
	s_and_saveexec_b64 s[14:15], s[0:1]
	s_cbranch_execz .LBB0_11
; %bb.10:
	v_and_or_b32 v28, v125, s12, v126
	v_lshlrev_b32_e32 v28, 4, v28
	ds_write_b128 v28, v[32:35]
	ds_write_b128 v28, v[36:39] offset:32
.LBB0_11:
	s_or_b64 exec, exec, s[14:15]
	s_waitcnt lgkmcnt(0)
	s_barrier
	ds_read_b128 v[44:47], v121
	ds_read_b128 v[48:51], v121 offset:3584
	ds_read_b128 v[40:43], v121 offset:12544
	;; [unrolled: 1-line block ×5, first 2 shown]
	s_and_saveexec_b64 s[14:15], s[0:1]
	s_cbranch_execz .LBB0_13
; %bb.12:
	ds_read_b128 v[32:35], v121 offset:10752
	ds_read_b128 v[36:39], v121 offset:23296
.LBB0_13:
	s_or_b64 exec, exec, s[14:15]
	v_and_b32_e32 v127, 3, v124
	v_lshlrev_b32_e32 v28, 4, v127
	global_load_dwordx4 v[28:31], v28, s[4:5] offset:32
	s_movk_i32 s14, 0x1f8
	s_movk_i32 s15, 0x3f8
	v_and_or_b32 v64, v72, s14, v127
	v_and_or_b32 v65, v73, s15, v127
	v_lshlrev_b32_e32 v138, 4, v64
	v_lshlrev_b32_e32 v137, 4, v65
	s_movk_i32 s12, 0x7f8
	v_and_or_b32 v83, v74, s12, v127
	v_lshlrev_b32_e32 v139, 4, v83
	s_waitcnt vmcnt(0) lgkmcnt(0)
	s_barrier
	v_mul_f64 v[64:65], v[42:43], v[30:31]
	v_mul_f64 v[66:67], v[40:41], v[30:31]
	;; [unrolled: 1-line block ×8, first 2 shown]
	v_fma_f64 v[40:41], v[40:41], v[28:29], -v[64:65]
	v_fma_f64 v[42:43], v[42:43], v[28:29], v[66:67]
	v_fma_f64 v[60:61], v[60:61], v[28:29], -v[68:69]
	v_fma_f64 v[62:63], v[62:63], v[28:29], v[70:71]
	;; [unrolled: 2-line block ×4, first 2 shown]
	v_add_f64 v[36:37], v[44:45], -v[40:41]
	v_add_f64 v[38:39], v[46:47], -v[42:43]
	;; [unrolled: 1-line block ×8, first 2 shown]
	v_fma_f64 v[44:45], v[44:45], 2.0, -v[36:37]
	v_fma_f64 v[46:47], v[46:47], 2.0, -v[38:39]
	;; [unrolled: 1-line block ×8, first 2 shown]
	ds_write_b128 v138, v[36:39] offset:64
	ds_write_b128 v138, v[44:47]
	ds_write_b128 v137, v[48:51]
	ds_write_b128 v137, v[56:59] offset:64
	ds_write_b128 v139, v[52:55]
	ds_write_b128 v139, v[60:63] offset:64
	s_and_saveexec_b64 s[14:15], s[0:1]
	s_cbranch_execz .LBB0_15
; %bb.14:
	v_and_or_b32 v36, v125, s12, v127
	v_lshlrev_b32_e32 v36, 4, v36
	ds_write_b128 v36, v[32:35]
	ds_write_b128 v36, v[40:43] offset:64
.LBB0_15:
	s_or_b64 exec, exec, s[14:15]
	s_waitcnt lgkmcnt(0)
	s_barrier
	ds_read_b128 v[48:51], v121
	ds_read_b128 v[52:55], v121 offset:3584
	ds_read_b128 v[44:47], v121 offset:12544
	;; [unrolled: 1-line block ×5, first 2 shown]
	s_and_saveexec_b64 s[14:15], s[0:1]
	s_cbranch_execz .LBB0_17
; %bb.16:
	ds_read_b128 v[32:35], v121 offset:10752
	ds_read_b128 v[40:43], v121 offset:23296
.LBB0_17:
	s_or_b64 exec, exec, s[14:15]
	v_and_b32_e32 v132, 7, v124
	v_lshlrev_b32_e32 v36, 4, v132
	global_load_dwordx4 v[36:39], v36, s[4:5] offset:96
	s_movk_i32 s14, 0x1f0
	s_movk_i32 s15, 0x3f0
	v_and_or_b32 v68, v72, s14, v132
	v_and_or_b32 v69, v73, s15, v132
	v_lshlrev_b32_e32 v141, 4, v68
	v_lshlrev_b32_e32 v140, 4, v69
	s_movk_i32 s12, 0x7f0
	v_and_or_b32 v87, v74, s12, v132
	v_lshlrev_b32_e32 v142, 4, v87
	s_waitcnt vmcnt(0) lgkmcnt(0)
	s_barrier
	v_mul_f64 v[68:69], v[46:47], v[38:39]
	v_mul_f64 v[70:71], v[44:45], v[38:39]
	;; [unrolled: 1-line block ×8, first 2 shown]
	v_fma_f64 v[44:45], v[44:45], v[36:37], -v[68:69]
	v_fma_f64 v[46:47], v[46:47], v[36:37], v[70:71]
	v_fma_f64 v[40:41], v[40:41], v[36:37], -v[83:84]
	v_fma_f64 v[42:43], v[42:43], v[36:37], v[85:86]
	;; [unrolled: 2-line block ×4, first 2 shown]
	v_add_f64 v[60:61], v[48:49], -v[44:45]
	v_add_f64 v[62:63], v[50:51], -v[46:47]
	;; [unrolled: 1-line block ×8, first 2 shown]
	v_fma_f64 v[48:49], v[48:49], 2.0, -v[60:61]
	v_fma_f64 v[50:51], v[50:51], 2.0, -v[62:63]
	;; [unrolled: 1-line block ×8, first 2 shown]
	ds_write_b128 v141, v[60:63] offset:128
	ds_write_b128 v141, v[48:51]
	ds_write_b128 v140, v[52:55]
	ds_write_b128 v140, v[64:67] offset:128
	ds_write_b128 v142, v[56:59]
	ds_write_b128 v142, v[68:71] offset:128
	s_and_saveexec_b64 s[14:15], s[0:1]
	s_cbranch_execz .LBB0_19
; %bb.18:
	v_and_or_b32 v32, v125, s12, v132
	v_lshlrev_b32_e32 v32, 4, v32
	ds_write_b128 v32, v[40:43]
	ds_write_b128 v32, v[44:47] offset:128
.LBB0_19:
	s_or_b64 exec, exec, s[14:15]
	s_waitcnt lgkmcnt(0)
	s_barrier
	ds_read_b128 v[48:51], v121
	ds_read_b128 v[52:55], v121 offset:3584
	ds_read_b128 v[60:63], v121 offset:12544
	;; [unrolled: 1-line block ×5, first 2 shown]
	s_and_saveexec_b64 s[14:15], s[0:1]
	s_cbranch_execz .LBB0_21
; %bb.20:
	ds_read_b128 v[40:43], v121 offset:10752
	ds_read_b128 v[44:47], v121 offset:23296
.LBB0_21:
	s_or_b64 exec, exec, s[14:15]
	v_and_b32_e32 v135, 15, v124
	v_lshlrev_b32_e32 v32, 4, v135
	global_load_dwordx4 v[32:35], v32, s[4:5] offset:224
	s_movk_i32 s14, 0x1e0
	s_movk_i32 s15, 0x3e0
	;; [unrolled: 1-line block ×3, first 2 shown]
	v_and_or_b32 v84, v72, s14, v135
	v_and_or_b32 v85, v73, s15, v135
	;; [unrolled: 1-line block ×3, first 2 shown]
	v_lshlrev_b32_e32 v144, 4, v84
	v_lshlrev_b32_e32 v143, 4, v85
	;; [unrolled: 1-line block ×3, first 2 shown]
	s_waitcnt vmcnt(0) lgkmcnt(0)
	s_barrier
	v_mul_f64 v[72:73], v[62:63], v[34:35]
	v_mul_f64 v[74:75], v[60:61], v[34:35]
	;; [unrolled: 1-line block ×6, first 2 shown]
	v_fma_f64 v[60:61], v[60:61], v[32:33], -v[72:73]
	v_fma_f64 v[62:63], v[62:63], v[32:33], v[74:75]
	v_fma_f64 v[68:69], v[68:69], v[32:33], -v[76:77]
	v_fma_f64 v[70:71], v[70:71], v[32:33], v[78:79]
	v_fma_f64 v[72:73], v[64:65], v[32:33], -v[80:81]
	v_fma_f64 v[74:75], v[66:67], v[32:33], v[82:83]
	v_mul_f64 v[76:77], v[46:47], v[34:35]
	v_mul_f64 v[78:79], v[44:45], v[34:35]
	v_add_f64 v[60:61], v[48:49], -v[60:61]
	v_add_f64 v[62:63], v[50:51], -v[62:63]
	;; [unrolled: 1-line block ×6, first 2 shown]
	v_fma_f64 v[72:73], v[44:45], v[32:33], -v[76:77]
	v_fma_f64 v[74:75], v[46:47], v[32:33], v[78:79]
	v_fma_f64 v[44:45], v[48:49], 2.0, -v[60:61]
	v_fma_f64 v[46:47], v[50:51], 2.0, -v[62:63]
	;; [unrolled: 1-line block ×6, first 2 shown]
	v_add_f64 v[88:89], v[40:41], -v[72:73]
	v_add_f64 v[90:91], v[42:43], -v[74:75]
	ds_write_b128 v144, v[60:63] offset:256
	ds_write_b128 v144, v[44:47]
	ds_write_b128 v143, v[48:51]
	ds_write_b128 v143, v[64:67] offset:256
	ds_write_b128 v145, v[52:55]
	ds_write_b128 v145, v[68:71] offset:256
	s_and_saveexec_b64 s[14:15], s[0:1]
	s_cbranch_execz .LBB0_23
; %bb.22:
	v_fma_f64 v[42:43], v[42:43], 2.0, -v[90:91]
	v_fma_f64 v[40:41], v[40:41], 2.0, -v[88:89]
	v_and_or_b32 v44, v125, s12, v135
	v_lshlrev_b32_e32 v44, 4, v44
	ds_write_b128 v44, v[40:43]
	ds_write_b128 v44, v[88:91] offset:256
.LBB0_23:
	s_or_b64 exec, exec, s[14:15]
	v_mov_b32_e32 v97, s5
	v_and_b32_e32 v98, 31, v124
	s_movk_i32 s12, 0x60
	v_mov_b32_e32 v96, s4
	v_mad_u64_u32 v[64:65], s[4:5], v98, s12, v[96:97]
	s_waitcnt lgkmcnt(0)
	s_barrier
	global_load_dwordx4 v[52:55], v[64:65], off offset:480
	global_load_dwordx4 v[48:51], v[64:65], off offset:496
	;; [unrolled: 1-line block ×6, first 2 shown]
	ds_read_b128 v[64:67], v121
	ds_read_b128 v[68:71], v121 offset:3584
	ds_read_b128 v[72:75], v121 offset:7168
	;; [unrolled: 1-line block ×6, first 2 shown]
	v_lshrrev_b32_e32 v99, 5, v124
	v_mul_u32_u24_e32 v99, 0xe0, v99
	v_or_b32_e32 v98, v99, v98
	v_lshlrev_b32_e32 v146, 4, v98
	s_mov_b32 s14, 0x37e14327
	s_mov_b32 s4, 0x36b3c0b5
	;; [unrolled: 1-line block ×20, first 2 shown]
	s_waitcnt vmcnt(0) lgkmcnt(0)
	s_barrier
	s_mov_b32 s33, 0x9000
	v_mul_f64 v[98:99], v[70:71], v[54:55]
	v_mul_f64 v[100:101], v[68:69], v[54:55]
	;; [unrolled: 1-line block ×12, first 2 shown]
	v_fma_f64 v[68:69], v[68:69], v[52:53], -v[98:99]
	v_fma_f64 v[70:71], v[70:71], v[52:53], v[100:101]
	v_fma_f64 v[72:73], v[72:73], v[48:49], -v[102:103]
	v_fma_f64 v[74:75], v[74:75], v[48:49], v[104:105]
	v_fma_f64 v[92:93], v[92:93], v[56:57], -v[114:115]
	v_fma_f64 v[94:95], v[94:95], v[56:57], v[116:117]
	v_fma_f64 v[84:85], v[84:85], v[60:61], -v[118:119]
	v_fma_f64 v[86:87], v[86:87], v[60:61], v[147:148]
	v_fma_f64 v[76:77], v[76:77], v[44:45], -v[106:107]
	v_fma_f64 v[78:79], v[78:79], v[44:45], v[108:109]
	v_fma_f64 v[80:81], v[80:81], v[40:41], -v[110:111]
	v_fma_f64 v[82:83], v[82:83], v[40:41], v[112:113]
	v_add_f64 v[98:99], v[68:69], v[92:93]
	v_add_f64 v[100:101], v[70:71], v[94:95]
	v_add_f64 v[68:69], v[68:69], -v[92:93]
	v_add_f64 v[70:71], v[70:71], -v[94:95]
	v_add_f64 v[92:93], v[72:73], v[84:85]
	v_add_f64 v[94:95], v[74:75], v[86:87]
	v_add_f64 v[72:73], v[72:73], -v[84:85]
	v_add_f64 v[74:75], v[74:75], -v[86:87]
	;; [unrolled: 4-line block ×4, first 2 shown]
	v_add_f64 v[98:99], v[98:99], -v[84:85]
	v_add_f64 v[100:101], v[100:101], -v[86:87]
	;; [unrolled: 1-line block ×4, first 2 shown]
	v_add_f64 v[106:107], v[76:77], v[72:73]
	v_add_f64 v[108:109], v[78:79], v[74:75]
	v_add_f64 v[110:111], v[76:77], -v[72:73]
	v_add_f64 v[112:113], v[78:79], -v[74:75]
	v_add_f64 v[80:81], v[84:85], v[80:81]
	v_add_f64 v[82:83], v[86:87], v[82:83]
	v_add_f64 v[72:73], v[72:73], -v[68:69]
	v_add_f64 v[74:75], v[74:75], -v[70:71]
	;; [unrolled: 1-line block ×4, first 2 shown]
	v_add_f64 v[68:69], v[106:107], v[68:69]
	v_add_f64 v[70:71], v[108:109], v[70:71]
	v_mul_f64 v[84:85], v[98:99], s[14:15]
	v_mul_f64 v[86:87], v[100:101], s[14:15]
	;; [unrolled: 1-line block ×6, first 2 shown]
	v_add_f64 v[64:65], v[64:65], v[80:81]
	v_add_f64 v[66:67], v[66:67], v[82:83]
	v_mul_f64 v[110:111], v[72:73], s[16:17]
	v_mul_f64 v[112:113], v[74:75], s[16:17]
	v_fma_f64 v[92:93], v[92:93], s[4:5], v[84:85]
	v_fma_f64 v[94:95], v[94:95], s[4:5], v[86:87]
	v_fma_f64 v[98:99], v[102:103], s[22:23], -v[98:99]
	v_fma_f64 v[100:101], v[104:105], s[22:23], -v[100:101]
	;; [unrolled: 1-line block ×4, first 2 shown]
	v_fma_f64 v[102:103], v[76:77], s[26:27], v[106:107]
	v_fma_f64 v[104:105], v[78:79], s[26:27], v[108:109]
	;; [unrolled: 1-line block ×4, first 2 shown]
	v_fma_f64 v[76:77], v[76:77], s[28:29], -v[110:111]
	v_fma_f64 v[78:79], v[78:79], s[28:29], -v[112:113]
	;; [unrolled: 1-line block ×4, first 2 shown]
	v_fma_f64 v[102:103], v[68:69], s[30:31], v[102:103]
	v_fma_f64 v[104:105], v[70:71], s[30:31], v[104:105]
	v_add_f64 v[92:93], v[92:93], v[80:81]
	v_add_f64 v[94:95], v[94:95], v[82:83]
	v_fma_f64 v[110:111], v[68:69], s[30:31], v[76:77]
	v_fma_f64 v[112:113], v[70:71], s[30:31], v[78:79]
	v_add_f64 v[84:85], v[84:85], v[80:81]
	v_add_f64 v[86:87], v[86:87], v[82:83]
	;; [unrolled: 4-line block ×3, first 2 shown]
	v_add_f64 v[68:69], v[104:105], v[92:93]
	v_add_f64 v[70:71], v[94:95], -v[102:103]
	v_add_f64 v[72:73], v[112:113], v[84:85]
	v_add_f64 v[74:75], v[86:87], -v[110:111]
	v_add_f64 v[84:85], v[84:85], -v[112:113]
	v_add_f64 v[86:87], v[110:111], v[86:87]
	v_add_f64 v[76:77], v[80:81], -v[108:109]
	v_add_f64 v[78:79], v[106:107], v[82:83]
	v_add_f64 v[80:81], v[108:109], v[80:81]
	v_add_f64 v[82:83], v[82:83], -v[106:107]
	v_add_f64 v[92:93], v[92:93], -v[104:105]
	v_add_f64 v[94:95], v[102:103], v[94:95]
	ds_write_b128 v146, v[64:67]
	ds_write_b128 v146, v[68:71] offset:512
	ds_write_b128 v146, v[72:75] offset:1024
	;; [unrolled: 1-line block ×6, first 2 shown]
	v_mad_u64_u32 v[92:93], s[34:35], v124, s12, v[96:97]
	s_waitcnt lgkmcnt(0)
	s_barrier
	global_load_dwordx4 v[76:79], v[92:93], off offset:3552
	global_load_dwordx4 v[72:75], v[92:93], off offset:3568
	;; [unrolled: 1-line block ×6, first 2 shown]
	v_mov_b32_e32 v92, s13
	v_addc_co_u32_e64 v171, vcc, 0, v92, s[2:3]
	ds_read_b128 v[92:95], v121
	ds_read_b128 v[96:99], v121 offset:3584
	ds_read_b128 v[100:103], v121 offset:7168
	;; [unrolled: 1-line block ×6, first 2 shown]
	s_movk_i32 s13, 0x6000
	s_movk_i32 s12, 0x6200
	s_mov_b32 s34, 0xa000
	s_movk_i32 s35, 0x7000
	s_waitcnt vmcnt(5) lgkmcnt(5)
	v_mul_f64 v[147:148], v[98:99], v[78:79]
	v_mul_f64 v[149:150], v[96:97], v[78:79]
	s_waitcnt vmcnt(4) lgkmcnt(4)
	v_mul_f64 v[151:152], v[102:103], v[74:75]
	v_mul_f64 v[153:154], v[100:101], v[74:75]
	;; [unrolled: 3-line block ×3, first 2 shown]
	s_waitcnt vmcnt(0)
	v_mul_f64 v[167:168], v[114:115], v[86:87]
	v_mul_f64 v[169:170], v[112:113], v[86:87]
	;; [unrolled: 1-line block ×6, first 2 shown]
	v_fma_f64 v[96:97], v[96:97], v[76:77], -v[147:148]
	v_fma_f64 v[98:99], v[98:99], v[76:77], v[149:150]
	v_fma_f64 v[100:101], v[100:101], v[72:73], -v[151:152]
	v_fma_f64 v[102:103], v[102:103], v[72:73], v[153:154]
	;; [unrolled: 2-line block ×6, first 2 shown]
	v_add_f64 v[147:148], v[96:97], v[116:117]
	v_add_f64 v[149:150], v[98:99], v[118:119]
	v_add_f64 v[96:97], v[96:97], -v[116:117]
	v_add_f64 v[98:99], v[98:99], -v[118:119]
	v_add_f64 v[116:117], v[100:101], v[112:113]
	v_add_f64 v[118:119], v[102:103], v[114:115]
	v_add_f64 v[100:101], v[100:101], -v[112:113]
	v_add_f64 v[102:103], v[102:103], -v[114:115]
	v_add_f64 v[112:113], v[104:105], v[108:109]
	v_add_f64 v[114:115], v[106:107], v[110:111]
	v_add_f64 v[104:105], v[108:109], -v[104:105]
	v_add_f64 v[106:107], v[110:111], -v[106:107]
	v_add_f64 v[108:109], v[116:117], v[147:148]
	v_add_f64 v[110:111], v[118:119], v[149:150]
	v_add_f64 v[151:152], v[116:117], -v[147:148]
	v_add_f64 v[153:154], v[118:119], -v[149:150]
	v_add_f64 v[147:148], v[147:148], -v[112:113]
	v_add_f64 v[149:150], v[149:150], -v[114:115]
	;; [unrolled: 1-line block ×4, first 2 shown]
	v_add_f64 v[155:156], v[104:105], v[100:101]
	v_add_f64 v[157:158], v[106:107], v[102:103]
	v_add_f64 v[159:160], v[104:105], -v[100:101]
	v_add_f64 v[161:162], v[106:107], -v[102:103]
	v_add_f64 v[108:109], v[112:113], v[108:109]
	v_add_f64 v[110:111], v[114:115], v[110:111]
	v_add_f64 v[100:101], v[100:101], -v[96:97]
	v_add_f64 v[102:103], v[102:103], -v[98:99]
	;; [unrolled: 1-line block ×4, first 2 shown]
	v_add_f64 v[112:113], v[155:156], v[96:97]
	v_add_f64 v[114:115], v[157:158], v[98:99]
	v_mul_f64 v[147:148], v[147:148], s[14:15]
	v_mul_f64 v[149:150], v[149:150], s[14:15]
	;; [unrolled: 1-line block ×6, first 2 shown]
	v_add_f64 v[96:97], v[92:93], v[108:109]
	v_add_f64 v[98:99], v[94:95], v[110:111]
	v_mul_f64 v[163:164], v[100:101], s[16:17]
	v_mul_f64 v[165:166], v[102:103], s[16:17]
	v_fma_f64 v[92:93], v[116:117], s[4:5], v[147:148]
	v_fma_f64 v[94:95], v[118:119], s[4:5], v[149:150]
	v_fma_f64 v[116:117], v[151:152], s[22:23], -v[155:156]
	v_fma_f64 v[118:119], v[153:154], s[22:23], -v[157:158]
	;; [unrolled: 1-line block ×4, first 2 shown]
	v_fma_f64 v[151:152], v[104:105], s[26:27], v[159:160]
	v_fma_f64 v[153:154], v[106:107], s[26:27], v[161:162]
	;; [unrolled: 1-line block ×4, first 2 shown]
	v_fma_f64 v[104:105], v[104:105], s[28:29], -v[163:164]
	v_fma_f64 v[106:107], v[106:107], s[28:29], -v[165:166]
	;; [unrolled: 1-line block ×4, first 2 shown]
	v_fma_f64 v[151:152], v[112:113], s[30:31], v[151:152]
	v_fma_f64 v[153:154], v[114:115], s[30:31], v[153:154]
	v_add_f64 v[92:93], v[92:93], v[108:109]
	v_add_f64 v[94:95], v[94:95], v[110:111]
	v_fma_f64 v[159:160], v[112:113], s[30:31], v[104:105]
	v_fma_f64 v[161:162], v[114:115], s[30:31], v[106:107]
	v_add_f64 v[147:148], v[147:148], v[108:109]
	v_add_f64 v[149:150], v[149:150], v[110:111]
	v_fma_f64 v[155:156], v[112:113], s[30:31], v[100:101]
	v_fma_f64 v[157:158], v[114:115], s[30:31], v[102:103]
	v_add_f64 v[112:113], v[116:117], v[108:109]
	v_add_f64 v[114:115], v[118:119], v[110:111]
	v_add_f64 v[100:101], v[153:154], v[92:93]
	v_add_f64 v[102:103], v[94:95], -v[151:152]
	v_add_f64 v[104:105], v[161:162], v[147:148]
	v_add_f64 v[106:107], v[149:150], -v[159:160]
	v_add_co_u32_e32 v163, vcc, s13, v122
	v_add_f64 v[108:109], v[112:113], -v[157:158]
	v_add_f64 v[110:111], v[155:156], v[114:115]
	v_add_f64 v[112:113], v[157:158], v[112:113]
	v_add_f64 v[114:115], v[114:115], -v[155:156]
	v_addc_co_u32_e32 v164, vcc, 0, v171, vcc
	v_add_f64 v[116:117], v[147:148], -v[161:162]
	v_add_f64 v[118:119], v[159:160], v[149:150]
	v_add_f64 v[92:93], v[92:93], -v[153:154]
	v_add_f64 v[94:95], v[151:152], v[94:95]
	v_add_co_u32_e32 v147, vcc, s33, v122
	v_addc_co_u32_e32 v148, vcc, 0, v171, vcc
	ds_write_b128 v121, v[96:99]
	ds_write_b128 v121, v[100:103] offset:3584
	ds_write_b128 v121, v[104:107] offset:7168
	;; [unrolled: 1-line block ×6, first 2 shown]
	v_add_co_u32_e32 v96, vcc, s12, v122
	v_addc_co_u32_e32 v97, vcc, 0, v171, vcc
	v_add_co_u32_e32 v118, vcc, s34, v122
	s_waitcnt lgkmcnt(0)
	s_barrier
	v_addc_co_u32_e32 v119, vcc, 0, v171, vcc
	global_load_dwordx4 v[98:101], v[163:164], off offset:512
	global_load_dwordx4 v[102:105], v[96:97], off offset:3584
	;; [unrolled: 1-line block ×4, first 2 shown]
	v_add_co_u32_e32 v114, vcc, s35, v122
	v_addc_co_u32_e32 v115, vcc, 0, v171, vcc
	global_load_dwordx4 v[114:117], v[114:115], off offset:3584
	s_nop 0
	global_load_dwordx4 v[147:150], v[118:119], off offset:3840
	ds_read_b128 v[151:154], v121
	ds_read_b128 v[155:158], v121 offset:3584
	ds_read_b128 v[159:162], v121 offset:12544
	;; [unrolled: 1-line block ×5, first 2 shown]
	s_waitcnt vmcnt(5) lgkmcnt(5)
	v_mul_f64 v[118:119], v[153:154], v[100:101]
	v_mul_f64 v[100:101], v[151:152], v[100:101]
	s_waitcnt vmcnt(3) lgkmcnt(3)
	v_mul_f64 v[175:176], v[161:162], v[108:109]
	v_mul_f64 v[108:109], v[159:160], v[108:109]
	;; [unrolled: 1-line block ×4, first 2 shown]
	s_waitcnt vmcnt(2) lgkmcnt(1)
	v_mul_f64 v[181:182], v[169:170], v[112:113]
	v_mul_f64 v[112:113], v[167:168], v[112:113]
	s_waitcnt vmcnt(1)
	v_mul_f64 v[183:184], v[165:166], v[116:117]
	v_mul_f64 v[185:186], v[163:164], v[116:117]
	s_waitcnt vmcnt(0) lgkmcnt(0)
	v_mul_f64 v[187:188], v[173:174], v[149:150]
	v_mul_f64 v[189:190], v[171:172], v[149:150]
	v_fma_f64 v[116:117], v[151:152], v[98:99], -v[118:119]
	v_fma_f64 v[118:119], v[153:154], v[98:99], v[100:101]
	v_fma_f64 v[98:99], v[159:160], v[106:107], -v[175:176]
	v_fma_f64 v[100:101], v[161:162], v[106:107], v[108:109]
	v_fma_f64 v[104:105], v[155:156], v[102:103], -v[177:178]
	v_fma_f64 v[106:107], v[157:158], v[102:103], v[179:180]
	v_fma_f64 v[108:109], v[167:168], v[110:111], -v[181:182]
	v_fma_f64 v[110:111], v[169:170], v[110:111], v[112:113]
	v_fma_f64 v[112:113], v[163:164], v[114:115], -v[183:184]
	v_fma_f64 v[114:115], v[165:166], v[114:115], v[185:186]
	v_fma_f64 v[149:150], v[171:172], v[147:148], -v[187:188]
	v_fma_f64 v[151:152], v[173:174], v[147:148], v[189:190]
	ds_write_b128 v121, v[116:119]
	ds_write_b128 v121, v[98:101] offset:12544
	ds_write_b128 v121, v[104:107] offset:3584
	;; [unrolled: 1-line block ×5, first 2 shown]
	s_and_saveexec_b64 s[2:3], s[0:1]
	s_cbranch_execz .LBB0_25
; %bb.24:
	v_add_co_u32_e32 v98, vcc, 0x2000, v96
	v_addc_co_u32_e32 v99, vcc, 0, v97, vcc
	s_movk_i32 s4, 0x5000
	v_add_co_u32_e32 v96, vcc, s4, v96
	global_load_dwordx4 v[98:101], v[98:99], off offset:2560
	v_addc_co_u32_e32 v97, vcc, 0, v97, vcc
	global_load_dwordx4 v[102:105], v[96:97], off offset:2816
	ds_read_b128 v[106:109], v121 offset:10752
	ds_read_b128 v[110:113], v121 offset:23296
	s_waitcnt vmcnt(1) lgkmcnt(1)
	v_mul_f64 v[96:97], v[108:109], v[100:101]
	v_mul_f64 v[100:101], v[106:107], v[100:101]
	s_waitcnt vmcnt(0) lgkmcnt(0)
	v_mul_f64 v[114:115], v[112:113], v[104:105]
	v_mul_f64 v[104:105], v[110:111], v[104:105]
	v_fma_f64 v[96:97], v[106:107], v[98:99], -v[96:97]
	v_fma_f64 v[98:99], v[108:109], v[98:99], v[100:101]
	v_fma_f64 v[100:101], v[110:111], v[102:103], -v[114:115]
	v_fma_f64 v[102:103], v[112:113], v[102:103], v[104:105]
	ds_write_b128 v121, v[96:99] offset:10752
	ds_write_b128 v121, v[100:103] offset:23296
.LBB0_25:
	s_or_b64 exec, exec, s[2:3]
	s_waitcnt lgkmcnt(0)
	s_barrier
	ds_read_b128 v[100:103], v121
	ds_read_b128 v[104:107], v121 offset:3584
	ds_read_b128 v[116:119], v121 offset:12544
	;; [unrolled: 1-line block ×5, first 2 shown]
	s_and_saveexec_b64 s[2:3], s[0:1]
	s_cbranch_execz .LBB0_27
; %bb.26:
	ds_read_b128 v[92:95], v121 offset:10752
	ds_read_b128 v[88:91], v121 offset:23296
.LBB0_27:
	s_or_b64 exec, exec, s[2:3]
	s_waitcnt lgkmcnt(3)
	v_add_f64 v[116:117], v[100:101], -v[116:117]
	v_add_f64 v[118:119], v[102:103], -v[118:119]
	s_waitcnt lgkmcnt(0)
	v_add_f64 v[147:148], v[108:109], -v[96:97]
	v_add_f64 v[149:150], v[110:111], -v[98:99]
	;; [unrolled: 1-line block ×6, first 2 shown]
	v_fma_f64 v[100:101], v[100:101], 2.0, -v[116:117]
	v_fma_f64 v[102:103], v[102:103], 2.0, -v[118:119]
	;; [unrolled: 1-line block ×8, first 2 shown]
	s_barrier
	ds_write_b128 v129, v[100:103]
	ds_write_b128 v129, v[116:119] offset:16
	ds_write_b128 v130, v[104:107]
	ds_write_b128 v130, v[112:115] offset:16
	;; [unrolled: 2-line block ×3, first 2 shown]
	s_and_saveexec_b64 s[2:3], s[0:1]
	s_cbranch_execz .LBB0_29
; %bb.28:
	ds_write_b128 v128, v[88:91]
	ds_write_b128 v128, v[96:99] offset:16
.LBB0_29:
	s_or_b64 exec, exec, s[2:3]
	s_waitcnt lgkmcnt(0)
	s_barrier
	ds_read_b128 v[100:103], v121
	ds_read_b128 v[104:107], v121 offset:3584
	ds_read_b128 v[92:95], v121 offset:12544
	;; [unrolled: 1-line block ×5, first 2 shown]
	s_and_saveexec_b64 s[2:3], s[0:1]
	s_cbranch_execz .LBB0_31
; %bb.30:
	ds_read_b128 v[88:91], v121 offset:10752
	ds_read_b128 v[96:99], v121 offset:23296
.LBB0_31:
	s_or_b64 exec, exec, s[2:3]
	s_waitcnt lgkmcnt(3)
	v_mul_f64 v[128:129], v[26:27], v[94:95]
	v_mul_f64 v[130:131], v[26:27], v[92:93]
	s_waitcnt lgkmcnt(1)
	v_mul_f64 v[147:148], v[26:27], v[118:119]
	v_mul_f64 v[149:150], v[26:27], v[116:117]
	;; [unrolled: 3-line block ×3, first 2 shown]
	v_mul_f64 v[155:156], v[26:27], v[98:99]
	v_mul_f64 v[26:27], v[26:27], v[96:97]
	v_fma_f64 v[92:93], v[24:25], v[92:93], v[128:129]
	v_fma_f64 v[94:95], v[24:25], v[94:95], -v[130:131]
	v_fma_f64 v[116:117], v[24:25], v[116:117], v[147:148]
	v_fma_f64 v[118:119], v[24:25], v[118:119], -v[149:150]
	;; [unrolled: 2-line block ×4, first 2 shown]
	v_add_f64 v[96:97], v[100:101], -v[92:93]
	v_add_f64 v[98:99], v[102:103], -v[94:95]
	;; [unrolled: 1-line block ×8, first 2 shown]
	v_fma_f64 v[100:101], v[100:101], 2.0, -v[96:97]
	v_fma_f64 v[102:103], v[102:103], 2.0, -v[98:99]
	;; [unrolled: 1-line block ×8, first 2 shown]
	s_barrier
	ds_write_b128 v134, v[100:103]
	ds_write_b128 v134, v[96:99] offset:32
	ds_write_b128 v133, v[104:107]
	ds_write_b128 v133, v[112:115] offset:32
	;; [unrolled: 2-line block ×3, first 2 shown]
	s_and_saveexec_b64 s[2:3], s[0:1]
	s_cbranch_execz .LBB0_33
; %bb.32:
	s_movk_i32 s4, 0x7fc
	v_and_or_b32 v88, v125, s4, v126
	v_lshlrev_b32_e32 v88, 4, v88
	ds_write_b128 v88, v[24:27]
	ds_write_b128 v88, v[92:95] offset:32
.LBB0_33:
	s_or_b64 exec, exec, s[2:3]
	s_waitcnt lgkmcnt(0)
	s_barrier
	ds_read_b128 v[88:91], v121
	ds_read_b128 v[96:99], v121 offset:3584
	ds_read_b128 v[104:107], v121 offset:12544
	;; [unrolled: 1-line block ×5, first 2 shown]
	s_and_saveexec_b64 s[2:3], s[0:1]
	s_cbranch_execz .LBB0_35
; %bb.34:
	ds_read_b128 v[24:27], v121 offset:10752
	ds_read_b128 v[92:95], v121 offset:23296
.LBB0_35:
	s_or_b64 exec, exec, s[2:3]
	s_waitcnt lgkmcnt(3)
	v_mul_f64 v[116:117], v[30:31], v[106:107]
	v_mul_f64 v[118:119], v[30:31], v[104:105]
	s_waitcnt lgkmcnt(1)
	v_mul_f64 v[128:129], v[30:31], v[114:115]
	v_mul_f64 v[130:131], v[30:31], v[112:113]
	s_waitcnt lgkmcnt(0)
	v_mul_f64 v[133:134], v[30:31], v[110:111]
	v_mul_f64 v[147:148], v[30:31], v[108:109]
	v_mul_f64 v[149:150], v[30:31], v[94:95]
	v_mul_f64 v[30:31], v[30:31], v[92:93]
	v_fma_f64 v[104:105], v[28:29], v[104:105], v[116:117]
	v_fma_f64 v[106:107], v[28:29], v[106:107], -v[118:119]
	v_fma_f64 v[112:113], v[28:29], v[112:113], v[128:129]
	v_fma_f64 v[114:115], v[28:29], v[114:115], -v[130:131]
	;; [unrolled: 2-line block ×4, first 2 shown]
	v_add_f64 v[92:93], v[88:89], -v[104:105]
	v_add_f64 v[94:95], v[90:91], -v[106:107]
	;; [unrolled: 1-line block ×8, first 2 shown]
	v_fma_f64 v[88:89], v[88:89], 2.0, -v[92:93]
	v_fma_f64 v[90:91], v[90:91], 2.0, -v[94:95]
	;; [unrolled: 1-line block ×8, first 2 shown]
	s_barrier
	ds_write_b128 v138, v[88:91]
	ds_write_b128 v138, v[92:95] offset:64
	ds_write_b128 v137, v[96:99]
	ds_write_b128 v137, v[104:107] offset:64
	;; [unrolled: 2-line block ×3, first 2 shown]
	s_and_saveexec_b64 s[2:3], s[0:1]
	s_cbranch_execz .LBB0_37
; %bb.36:
	s_movk_i32 s4, 0x7f8
	v_and_or_b32 v88, v125, s4, v127
	v_lshlrev_b32_e32 v88, 4, v88
	ds_write_b128 v88, v[24:27]
	ds_write_b128 v88, v[28:31] offset:64
.LBB0_37:
	s_or_b64 exec, exec, s[2:3]
	s_waitcnt lgkmcnt(0)
	s_barrier
	ds_read_b128 v[88:91], v121
	ds_read_b128 v[92:95], v121 offset:3584
	ds_read_b128 v[100:103], v121 offset:12544
	;; [unrolled: 1-line block ×5, first 2 shown]
	s_and_saveexec_b64 s[2:3], s[0:1]
	s_cbranch_execz .LBB0_39
; %bb.38:
	ds_read_b128 v[24:27], v121 offset:10752
	ds_read_b128 v[28:31], v121 offset:23296
.LBB0_39:
	s_or_b64 exec, exec, s[2:3]
	s_waitcnt lgkmcnt(3)
	v_mul_f64 v[112:113], v[38:39], v[102:103]
	v_mul_f64 v[114:115], v[38:39], v[100:101]
	s_waitcnt lgkmcnt(1)
	v_mul_f64 v[116:117], v[38:39], v[110:111]
	v_mul_f64 v[118:119], v[38:39], v[108:109]
	;; [unrolled: 3-line block ×3, first 2 shown]
	v_mul_f64 v[130:131], v[38:39], v[30:31]
	v_mul_f64 v[38:39], v[38:39], v[28:29]
	v_fma_f64 v[100:101], v[36:37], v[100:101], v[112:113]
	v_fma_f64 v[102:103], v[36:37], v[102:103], -v[114:115]
	v_fma_f64 v[108:109], v[36:37], v[108:109], v[116:117]
	v_fma_f64 v[110:111], v[36:37], v[110:111], -v[118:119]
	;; [unrolled: 2-line block ×4, first 2 shown]
	v_add_f64 v[36:37], v[88:89], -v[100:101]
	v_add_f64 v[38:39], v[90:91], -v[102:103]
	;; [unrolled: 1-line block ×8, first 2 shown]
	v_fma_f64 v[88:89], v[88:89], 2.0, -v[36:37]
	v_fma_f64 v[90:91], v[90:91], 2.0, -v[38:39]
	;; [unrolled: 1-line block ×8, first 2 shown]
	s_barrier
	ds_write_b128 v141, v[88:91]
	ds_write_b128 v141, v[36:39] offset:128
	ds_write_b128 v140, v[92:95]
	ds_write_b128 v140, v[100:103] offset:128
	;; [unrolled: 2-line block ×3, first 2 shown]
	s_and_saveexec_b64 s[2:3], s[0:1]
	s_cbranch_execz .LBB0_41
; %bb.40:
	s_movk_i32 s4, 0x7f0
	v_and_or_b32 v36, v125, s4, v132
	v_lshlrev_b32_e32 v36, 4, v36
	ds_write_b128 v36, v[24:27]
	ds_write_b128 v36, v[28:31] offset:128
.LBB0_41:
	s_or_b64 exec, exec, s[2:3]
	s_waitcnt lgkmcnt(0)
	s_barrier
	ds_read_b128 v[88:91], v121
	ds_read_b128 v[92:95], v121 offset:3584
	ds_read_b128 v[96:99], v121 offset:12544
	;; [unrolled: 1-line block ×5, first 2 shown]
	s_and_saveexec_b64 s[2:3], s[0:1]
	s_cbranch_execz .LBB0_43
; %bb.42:
	ds_read_b128 v[24:27], v121 offset:10752
	ds_read_b128 v[28:31], v121 offset:23296
.LBB0_43:
	s_or_b64 exec, exec, s[2:3]
	s_waitcnt lgkmcnt(3)
	v_mul_f64 v[108:109], v[34:35], v[98:99]
	v_mul_f64 v[110:111], v[34:35], v[96:97]
	s_waitcnt lgkmcnt(1)
	v_mul_f64 v[112:113], v[34:35], v[106:107]
	v_mul_f64 v[114:115], v[34:35], v[104:105]
	;; [unrolled: 3-line block ×3, first 2 shown]
	s_barrier
	v_fma_f64 v[96:97], v[32:33], v[96:97], v[108:109]
	v_fma_f64 v[98:99], v[32:33], v[98:99], -v[110:111]
	v_fma_f64 v[104:105], v[32:33], v[104:105], v[112:113]
	v_fma_f64 v[106:107], v[32:33], v[106:107], -v[114:115]
	;; [unrolled: 2-line block ×3, first 2 shown]
	v_add_f64 v[96:97], v[88:89], -v[96:97]
	v_add_f64 v[98:99], v[90:91], -v[98:99]
	;; [unrolled: 1-line block ×6, first 2 shown]
	v_fma_f64 v[88:89], v[88:89], 2.0, -v[96:97]
	v_fma_f64 v[90:91], v[90:91], 2.0, -v[98:99]
	;; [unrolled: 1-line block ×6, first 2 shown]
	ds_write_b128 v144, v[96:99] offset:256
	ds_write_b128 v144, v[88:91]
	ds_write_b128 v143, v[92:95]
	ds_write_b128 v143, v[100:103] offset:256
	ds_write_b128 v145, v[36:39]
	ds_write_b128 v145, v[104:107] offset:256
	s_and_saveexec_b64 s[2:3], s[0:1]
	s_cbranch_execz .LBB0_45
; %bb.44:
	v_mul_f64 v[36:37], v[34:35], v[28:29]
	v_mul_f64 v[34:35], v[34:35], v[30:31]
	s_movk_i32 s4, 0x7e0
	v_fma_f64 v[30:31], v[32:33], v[30:31], -v[36:37]
	v_fma_f64 v[28:29], v[32:33], v[28:29], v[34:35]
	v_and_or_b32 v32, v125, s4, v135
	v_lshlrev_b32_e32 v32, 4, v32
	v_add_f64 v[30:31], v[26:27], -v[30:31]
	v_add_f64 v[28:29], v[24:25], -v[28:29]
	v_fma_f64 v[26:27], v[26:27], 2.0, -v[30:31]
	v_fma_f64 v[24:25], v[24:25], 2.0, -v[28:29]
	ds_write_b128 v32, v[24:27]
	ds_write_b128 v32, v[28:31] offset:256
.LBB0_45:
	s_or_b64 exec, exec, s[2:3]
	s_waitcnt lgkmcnt(0)
	s_barrier
	ds_read_b128 v[24:27], v121 offset:3584
	ds_read_b128 v[28:31], v121 offset:7168
	;; [unrolled: 1-line block ×3, first 2 shown]
	ds_read_b128 v[36:39], v121
	ds_read_b128 v[88:91], v121 offset:14336
	ds_read_b128 v[92:95], v121 offset:17920
	ds_read_b128 v[96:99], v121 offset:21504
	s_mov_b32 s4, 0x37e14327
	s_waitcnt lgkmcnt(6)
	v_mul_f64 v[100:101], v[54:55], v[26:27]
	v_mul_f64 v[54:55], v[54:55], v[24:25]
	s_waitcnt lgkmcnt(5)
	v_mul_f64 v[102:103], v[50:51], v[30:31]
	v_mul_f64 v[50:51], v[50:51], v[28:29]
	s_mov_b32 s2, 0x36b3c0b5
	s_mov_b32 s14, 0xe976ee23
	;; [unrolled: 1-line block ×4, first 2 shown]
	v_fma_f64 v[24:25], v[52:53], v[24:25], v[100:101]
	v_fma_f64 v[26:27], v[52:53], v[26:27], -v[54:55]
	v_fma_f64 v[28:29], v[48:49], v[28:29], v[102:103]
	v_fma_f64 v[30:31], v[48:49], v[30:31], -v[50:51]
	s_waitcnt lgkmcnt(0)
	v_mul_f64 v[48:49], v[58:59], v[98:99]
	v_mul_f64 v[50:51], v[58:59], v[96:97]
	;; [unrolled: 1-line block ×8, first 2 shown]
	v_fma_f64 v[48:49], v[56:57], v[96:97], v[48:49]
	v_fma_f64 v[50:51], v[56:57], v[98:99], -v[50:51]
	v_fma_f64 v[32:33], v[44:45], v[32:33], v[52:53]
	v_fma_f64 v[34:35], v[44:45], v[34:35], -v[46:47]
	;; [unrolled: 2-line block ×4, first 2 shown]
	v_add_f64 v[42:43], v[24:25], v[48:49]
	v_add_f64 v[54:55], v[26:27], v[50:51]
	v_add_f64 v[24:25], v[24:25], -v[48:49]
	v_add_f64 v[26:27], v[26:27], -v[50:51]
	v_add_f64 v[48:49], v[28:29], v[44:45]
	v_add_f64 v[50:51], v[30:31], v[46:47]
	v_add_f64 v[28:29], v[28:29], -v[44:45]
	v_add_f64 v[30:31], v[30:31], -v[46:47]
	;; [unrolled: 4-line block ×4, first 2 shown]
	v_add_f64 v[42:43], v[42:43], -v[44:45]
	v_add_f64 v[54:55], v[54:55], -v[46:47]
	;; [unrolled: 1-line block ×4, first 2 shown]
	v_add_f64 v[60:61], v[32:33], v[28:29]
	v_add_f64 v[62:63], v[34:35], v[30:31]
	v_add_f64 v[88:89], v[32:33], -v[28:29]
	v_add_f64 v[90:91], v[34:35], -v[30:31]
	v_add_f64 v[40:41], v[44:45], v[40:41]
	v_add_f64 v[44:45], v[46:47], v[52:53]
	v_add_f64 v[28:29], v[28:29], -v[24:25]
	v_add_f64 v[30:31], v[30:31], -v[26:27]
	s_mov_b32 s15, 0x3fe11646
	s_mov_b32 s12, 0x429ad128
	v_add_f64 v[32:33], v[24:25], -v[32:33]
	v_add_f64 v[34:35], v[26:27], -v[34:35]
	v_add_f64 v[46:47], v[60:61], v[24:25]
	v_add_f64 v[52:53], v[62:63], v[26:27]
	;; [unrolled: 1-line block ×4, first 2 shown]
	v_mul_f64 v[36:37], v[42:43], s[4:5]
	v_mul_f64 v[38:39], v[54:55], s[4:5]
	;; [unrolled: 1-line block ×6, first 2 shown]
	s_mov_b32 s13, 0xbfebfeb5
	v_mul_f64 v[88:89], v[28:29], s[12:13]
	v_mul_f64 v[90:91], v[30:31], s[12:13]
	s_mov_b32 s16, 0xaaaaaaaa
	s_mov_b32 s18, 0x5476071b
	s_mov_b32 s22, 0xb247c609
	s_mov_b32 s17, 0xbff2aaaa
	s_mov_b32 s19, 0x3fe77f67
	s_mov_b32 s21, 0xbfe77f67
	s_mov_b32 s20, s18
	s_mov_b32 s23, 0xbfd5d0dc
	v_fma_f64 v[40:41], v[40:41], s[16:17], v[24:25]
	v_fma_f64 v[44:45], v[44:45], s[16:17], v[26:27]
	;; [unrolled: 1-line block ×4, first 2 shown]
	v_fma_f64 v[42:43], v[56:57], s[18:19], -v[42:43]
	v_fma_f64 v[54:55], v[58:59], s[18:19], -v[54:55]
	;; [unrolled: 1-line block ×4, first 2 shown]
	v_fma_f64 v[56:57], v[32:33], s[22:23], v[60:61]
	v_fma_f64 v[58:59], v[34:35], s[22:23], v[62:63]
	s_mov_b32 s27, 0x3fd5d0dc
	s_mov_b32 s26, s22
	v_fma_f64 v[32:33], v[32:33], s[26:27], -v[88:89]
	v_fma_f64 v[34:35], v[34:35], s[26:27], -v[90:91]
	;; [unrolled: 1-line block ×4, first 2 shown]
	s_mov_b32 s24, 0x37c3f68c
	s_mov_b32 s25, 0xbfdc38aa
	v_add_f64 v[48:49], v[48:49], v[40:41]
	v_add_f64 v[50:51], v[50:51], v[44:45]
	v_fma_f64 v[58:59], v[52:53], s[24:25], v[58:59]
	v_fma_f64 v[56:57], v[46:47], s[24:25], v[56:57]
	v_add_f64 v[54:55], v[54:55], v[44:45]
	v_add_f64 v[60:61], v[36:37], v[40:41]
	;; [unrolled: 1-line block ×3, first 2 shown]
	v_fma_f64 v[44:45], v[52:53], s[24:25], v[34:35]
	v_fma_f64 v[88:89], v[46:47], s[24:25], v[32:33]
	v_add_f64 v[42:43], v[42:43], v[40:41]
	v_fma_f64 v[40:41], v[52:53], s[24:25], v[30:31]
	v_fma_f64 v[46:47], v[46:47], s[24:25], v[28:29]
	v_add_f64 v[28:29], v[58:59], v[48:49]
	v_add_f64 v[30:31], v[50:51], -v[56:57]
	v_add_f64 v[48:49], v[48:49], -v[58:59]
	v_add_f64 v[32:33], v[44:45], v[60:61]
	v_add_f64 v[34:35], v[62:63], -v[88:89]
	v_add_f64 v[44:45], v[60:61], -v[44:45]
	;; [unrolled: 1-line block ×3, first 2 shown]
	v_add_f64 v[38:39], v[46:47], v[54:55]
	v_add_f64 v[40:41], v[40:41], v[42:43]
	v_add_f64 v[42:43], v[54:55], -v[46:47]
	v_add_f64 v[46:47], v[88:89], v[62:63]
	v_add_f64 v[50:51], v[56:57], v[50:51]
	s_barrier
	ds_write_b128 v146, v[24:27]
	ds_write_b128 v146, v[28:31] offset:512
	ds_write_b128 v146, v[32:35] offset:1024
	;; [unrolled: 1-line block ×6, first 2 shown]
	s_waitcnt lgkmcnt(0)
	s_barrier
	ds_read_b128 v[24:27], v121 offset:3584
	ds_read_b128 v[28:31], v121 offset:7168
	;; [unrolled: 1-line block ×3, first 2 shown]
	ds_read_b128 v[36:39], v121
	ds_read_b128 v[40:43], v121 offset:14336
	ds_read_b128 v[44:47], v121 offset:17920
	ds_read_b128 v[48:51], v121 offset:21504
	s_waitcnt lgkmcnt(6)
	v_mul_f64 v[52:53], v[78:79], v[26:27]
	v_mul_f64 v[54:55], v[78:79], v[24:25]
	s_waitcnt lgkmcnt(5)
	v_mul_f64 v[56:57], v[74:75], v[30:31]
	v_mul_f64 v[58:59], v[74:75], v[28:29]
	s_waitcnt lgkmcnt(1)
	v_mul_f64 v[60:61], v[86:87], v[46:47]
	v_mul_f64 v[62:63], v[86:87], v[44:45]
	v_fma_f64 v[24:25], v[76:77], v[24:25], v[52:53]
	v_fma_f64 v[26:27], v[76:77], v[26:27], -v[54:55]
	s_waitcnt lgkmcnt(0)
	v_mul_f64 v[52:53], v[82:83], v[50:51]
	v_mul_f64 v[54:55], v[82:83], v[48:49]
	v_fma_f64 v[28:29], v[72:73], v[28:29], v[56:57]
	v_fma_f64 v[30:31], v[72:73], v[30:31], -v[58:59]
	v_mul_f64 v[56:57], v[70:71], v[34:35]
	v_mul_f64 v[58:59], v[70:71], v[32:33]
	;; [unrolled: 1-line block ×4, first 2 shown]
	v_fma_f64 v[48:49], v[80:81], v[48:49], v[52:53]
	v_fma_f64 v[50:51], v[80:81], v[50:51], -v[54:55]
	v_fma_f64 v[44:45], v[84:85], v[44:45], v[60:61]
	v_fma_f64 v[46:47], v[84:85], v[46:47], -v[62:63]
	;; [unrolled: 2-line block ×4, first 2 shown]
	v_add_f64 v[52:53], v[24:25], v[48:49]
	v_add_f64 v[54:55], v[26:27], v[50:51]
	v_add_f64 v[24:25], v[24:25], -v[48:49]
	v_add_f64 v[26:27], v[26:27], -v[50:51]
	v_add_f64 v[48:49], v[28:29], v[44:45]
	v_add_f64 v[50:51], v[30:31], v[46:47]
	v_add_f64 v[28:29], v[28:29], -v[44:45]
	v_add_f64 v[30:31], v[30:31], -v[46:47]
	;; [unrolled: 4-line block ×4, first 2 shown]
	v_add_f64 v[52:53], v[52:53], -v[44:45]
	v_add_f64 v[54:55], v[54:55], -v[46:47]
	;; [unrolled: 1-line block ×4, first 2 shown]
	v_add_f64 v[60:61], v[32:33], v[28:29]
	v_add_f64 v[62:63], v[34:35], v[30:31]
	v_add_f64 v[64:65], v[32:33], -v[28:29]
	v_add_f64 v[66:67], v[34:35], -v[30:31]
	v_add_f64 v[40:41], v[44:45], v[40:41]
	v_add_f64 v[42:43], v[46:47], v[42:43]
	v_add_f64 v[28:29], v[28:29], -v[24:25]
	v_add_f64 v[30:31], v[30:31], -v[26:27]
	;; [unrolled: 1-line block ×4, first 2 shown]
	v_add_f64 v[44:45], v[60:61], v[24:25]
	v_add_f64 v[46:47], v[62:63], v[26:27]
	;; [unrolled: 1-line block ×4, first 2 shown]
	v_mul_f64 v[36:37], v[52:53], s[4:5]
	v_mul_f64 v[38:39], v[54:55], s[4:5]
	;; [unrolled: 1-line block ×8, first 2 shown]
	v_fma_f64 v[40:41], v[40:41], s[16:17], v[24:25]
	v_fma_f64 v[42:43], v[42:43], s[16:17], v[26:27]
	;; [unrolled: 1-line block ×4, first 2 shown]
	v_fma_f64 v[52:53], v[56:57], s[18:19], -v[52:53]
	v_fma_f64 v[54:55], v[58:59], s[18:19], -v[54:55]
	;; [unrolled: 1-line block ×4, first 2 shown]
	v_fma_f64 v[56:57], v[32:33], s[22:23], v[60:61]
	v_fma_f64 v[58:59], v[34:35], s[22:23], v[62:63]
	v_fma_f64 v[32:33], v[32:33], s[26:27], -v[64:65]
	v_fma_f64 v[34:35], v[34:35], s[26:27], -v[66:67]
	;; [unrolled: 1-line block ×4, first 2 shown]
	v_add_f64 v[48:49], v[48:49], v[40:41]
	v_add_f64 v[50:51], v[50:51], v[42:43]
	v_fma_f64 v[56:57], v[44:45], s[24:25], v[56:57]
	v_fma_f64 v[58:59], v[46:47], s[24:25], v[58:59]
	v_add_f64 v[60:61], v[36:37], v[40:41]
	v_add_f64 v[62:63], v[38:39], v[42:43]
	v_fma_f64 v[64:65], v[46:47], s[24:25], v[34:35]
	v_fma_f64 v[66:67], v[44:45], s[24:25], v[32:33]
	;; [unrolled: 4-line block ×3, first 2 shown]
	v_add_f64 v[28:29], v[58:59], v[48:49]
	v_add_f64 v[30:31], v[50:51], -v[56:57]
	v_add_f64 v[32:33], v[64:65], v[60:61]
	v_add_f64 v[34:35], v[62:63], -v[66:67]
	v_add_f64 v[44:45], v[60:61], -v[64:65]
	v_add_f64 v[46:47], v[66:67], v[62:63]
	v_add_f64 v[36:37], v[52:53], -v[40:41]
	v_add_f64 v[38:39], v[42:43], v[54:55]
	v_add_f64 v[40:41], v[40:41], v[52:53]
	v_add_f64 v[42:43], v[54:55], -v[42:43]
	v_add_f64 v[48:49], v[48:49], -v[58:59]
	v_add_f64 v[50:51], v[56:57], v[50:51]
	ds_write_b128 v121, v[24:27]
	ds_write_b128 v121, v[28:31] offset:3584
	ds_write_b128 v121, v[32:35] offset:7168
	;; [unrolled: 1-line block ×6, first 2 shown]
	s_waitcnt lgkmcnt(0)
	s_barrier
	ds_read_b128 v[24:27], v121
	ds_read_b128 v[28:31], v121 offset:3584
	v_mad_u64_u32 v[52:53], s[2:3], s10, v120, 0
	v_mov_b32_e32 v42, s7
	s_waitcnt lgkmcnt(1)
	v_mul_f64 v[33:34], v[22:23], v[26:27]
	v_mul_f64 v[22:23], v[22:23], v[24:25]
	v_mov_b32_e32 v32, v53
	s_mul_hi_u32 s7, s8, 0xfffffdd0
	s_sub_i32 s7, s7, s8
	v_mad_u64_u32 v[35:36], s[2:3], s11, v120, v[32:33]
	v_mad_u64_u32 v[36:37], s[2:3], s8, v124, 0
	v_fma_f64 v[24:25], v[20:21], v[24:25], v[33:34]
	v_fma_f64 v[26:27], v[20:21], v[26:27], -v[22:23]
	v_mov_b32_e32 v20, v37
	v_mad_u64_u32 v[32:33], s[4:5], s9, v124, v[20:21]
	ds_read_b128 v[20:23], v121 offset:12544
	v_mov_b32_e32 v53, v35
	v_mov_b32_e32 v37, v32
	ds_read_b128 v[32:35], v121 offset:7168
	v_lshlrev_b64 v[40:41], 4, v[52:53]
	s_waitcnt lgkmcnt(1)
	v_mul_f64 v[38:39], v[18:19], v[22:23]
	v_mul_f64 v[18:19], v[18:19], v[20:21]
	v_add_co_u32_e32 v40, vcc, s6, v40
	s_mov_b32 s2, 0xa72f0539
	v_addc_co_u32_e32 v41, vcc, v42, v41, vcc
	s_mov_b32 s3, 0x3f44e5e0
	v_fma_f64 v[20:21], v[16:17], v[20:21], v[38:39]
	v_fma_f64 v[18:19], v[16:17], v[22:23], -v[18:19]
	v_lshlrev_b64 v[16:17], 4, v[36:37]
	v_mul_f64 v[24:25], v[24:25], s[2:3]
	v_add_co_u32_e32 v22, vcc, v40, v16
	v_mul_f64 v[26:27], v[26:27], s[2:3]
	v_addc_co_u32_e32 v23, vcc, v41, v17, vcc
	v_mul_f64 v[16:17], v[20:21], s[2:3]
	v_mul_f64 v[20:21], v[6:7], v[30:31]
	;; [unrolled: 1-line block ×4, first 2 shown]
	s_mul_i32 s4, s9, 0x310
	global_store_dwordx4 v[22:23], v[24:27], off
	s_mul_hi_u32 s5, s8, 0x310
	s_add_i32 s5, s5, s4
	s_mul_i32 s4, s8, 0x310
	v_fma_f64 v[20:21], v[4:5], v[28:29], v[20:21]
	v_fma_f64 v[24:25], v[4:5], v[30:31], -v[6:7]
	ds_read_b128 v[4:7], v121 offset:16128
	s_lshl_b64 s[4:5], s[4:5], 4
	v_mov_b32_e32 v36, s5
	v_add_co_u32_e32 v26, vcc, s4, v22
	v_addc_co_u32_e32 v27, vcc, v23, v36, vcc
	global_store_dwordx4 v[26:27], v[16:19], off
	s_mul_i32 s6, s9, 0xfffffdd0
	v_mul_f64 v[16:17], v[20:21], s[2:3]
	ds_read_b128 v[20:23], v121 offset:19712
	v_mul_f64 v[18:19], v[24:25], s[2:3]
	s_waitcnt lgkmcnt(1)
	v_mul_f64 v[24:25], v[2:3], v[6:7]
	v_mul_f64 v[2:3], v[2:3], v[4:5]
	s_add_i32 s7, s7, s6
	s_mul_i32 s6, s8, 0xfffffdd0
	s_lshl_b64 s[6:7], s[6:7], 4
	v_mov_b32_e32 v28, s7
	v_add_co_u32_e32 v26, vcc, s6, v26
	v_fma_f64 v[4:5], v[0:1], v[4:5], v[24:25]
	v_fma_f64 v[2:3], v[0:1], v[6:7], -v[2:3]
	v_mul_f64 v[6:7], v[10:11], v[34:35]
	v_mul_f64 v[10:11], v[10:11], v[32:33]
	s_waitcnt lgkmcnt(0)
	v_mul_f64 v[24:25], v[14:15], v[22:23]
	v_mul_f64 v[14:15], v[14:15], v[20:21]
	v_addc_co_u32_e32 v27, vcc, v27, v28, vcc
	v_mul_f64 v[0:1], v[4:5], s[2:3]
	v_mul_f64 v[2:3], v[2:3], s[2:3]
	v_fma_f64 v[4:5], v[8:9], v[32:33], v[6:7]
	v_fma_f64 v[6:7], v[8:9], v[34:35], -v[10:11]
	v_fma_f64 v[8:9], v[12:13], v[20:21], v[24:25]
	v_fma_f64 v[10:11], v[12:13], v[22:23], -v[14:15]
	v_add_co_u32_e32 v12, vcc, s4, v26
	v_addc_co_u32_e32 v13, vcc, v27, v36, vcc
	v_mul_f64 v[4:5], v[4:5], s[2:3]
	v_mul_f64 v[6:7], v[6:7], s[2:3]
	;; [unrolled: 1-line block ×4, first 2 shown]
	global_store_dwordx4 v[26:27], v[16:19], off
	global_store_dwordx4 v[12:13], v[0:3], off
	s_nop 0
	v_add_co_u32_e32 v0, vcc, s6, v12
	v_addc_co_u32_e32 v1, vcc, v13, v28, vcc
	global_store_dwordx4 v[0:1], v[4:7], off
	v_add_co_u32_e32 v0, vcc, s4, v0
	v_addc_co_u32_e32 v1, vcc, v1, v36, vcc
	global_store_dwordx4 v[0:1], v[8:11], off
	s_and_b64 exec, exec, s[0:1]
	s_cbranch_execz .LBB0_47
; %bb.46:
	v_add_co_u32_e32 v2, vcc, 0x2000, v122
	v_addc_co_u32_e32 v3, vcc, 0, v123, vcc
	s_movk_i32 s0, 0x5000
	v_add_co_u32_e32 v6, vcc, s0, v122
	global_load_dwordx4 v[2:5], v[2:3], off offset:2560
	v_addc_co_u32_e32 v7, vcc, 0, v123, vcc
	global_load_dwordx4 v[6:9], v[6:7], off offset:2816
	ds_read_b128 v[10:13], v121 offset:10752
	ds_read_b128 v[14:17], v121 offset:23296
	v_add_co_u32_e32 v0, vcc, s6, v0
	s_waitcnt vmcnt(1) lgkmcnt(1)
	v_mul_f64 v[18:19], v[12:13], v[4:5]
	v_mul_f64 v[4:5], v[10:11], v[4:5]
	s_waitcnt vmcnt(0) lgkmcnt(0)
	v_mul_f64 v[20:21], v[16:17], v[8:9]
	v_mul_f64 v[8:9], v[14:15], v[8:9]
	v_fma_f64 v[10:11], v[10:11], v[2:3], v[18:19]
	v_fma_f64 v[4:5], v[2:3], v[12:13], -v[4:5]
	v_fma_f64 v[12:13], v[14:15], v[6:7], v[20:21]
	v_fma_f64 v[8:9], v[6:7], v[16:17], -v[8:9]
	v_mov_b32_e32 v14, s7
	v_addc_co_u32_e32 v1, vcc, v1, v14, vcc
	v_mul_f64 v[2:3], v[10:11], s[2:3]
	v_mul_f64 v[4:5], v[4:5], s[2:3]
	v_mov_b32_e32 v15, s5
	v_mul_f64 v[6:7], v[12:13], s[2:3]
	v_mul_f64 v[8:9], v[8:9], s[2:3]
	v_add_co_u32_e32 v10, vcc, s4, v0
	v_addc_co_u32_e32 v11, vcc, v1, v15, vcc
	global_store_dwordx4 v[0:1], v[2:5], off
	global_store_dwordx4 v[10:11], v[6:9], off
.LBB0_47:
	s_endpgm
	.section	.rodata,"a",@progbits
	.p2align	6, 0x0
	.amdhsa_kernel bluestein_single_fwd_len1568_dim1_dp_op_CI_CI
		.amdhsa_group_segment_fixed_size 25088
		.amdhsa_private_segment_fixed_size 0
		.amdhsa_kernarg_size 104
		.amdhsa_user_sgpr_count 6
		.amdhsa_user_sgpr_private_segment_buffer 1
		.amdhsa_user_sgpr_dispatch_ptr 0
		.amdhsa_user_sgpr_queue_ptr 0
		.amdhsa_user_sgpr_kernarg_segment_ptr 1
		.amdhsa_user_sgpr_dispatch_id 0
		.amdhsa_user_sgpr_flat_scratch_init 0
		.amdhsa_user_sgpr_private_segment_size 0
		.amdhsa_uses_dynamic_stack 0
		.amdhsa_system_sgpr_private_segment_wavefront_offset 0
		.amdhsa_system_sgpr_workgroup_id_x 1
		.amdhsa_system_sgpr_workgroup_id_y 0
		.amdhsa_system_sgpr_workgroup_id_z 0
		.amdhsa_system_sgpr_workgroup_info 0
		.amdhsa_system_vgpr_workitem_id 0
		.amdhsa_next_free_vgpr 191
		.amdhsa_next_free_sgpr 36
		.amdhsa_reserve_vcc 1
		.amdhsa_reserve_flat_scratch 0
		.amdhsa_float_round_mode_32 0
		.amdhsa_float_round_mode_16_64 0
		.amdhsa_float_denorm_mode_32 3
		.amdhsa_float_denorm_mode_16_64 3
		.amdhsa_dx10_clamp 1
		.amdhsa_ieee_mode 1
		.amdhsa_fp16_overflow 0
		.amdhsa_exception_fp_ieee_invalid_op 0
		.amdhsa_exception_fp_denorm_src 0
		.amdhsa_exception_fp_ieee_div_zero 0
		.amdhsa_exception_fp_ieee_overflow 0
		.amdhsa_exception_fp_ieee_underflow 0
		.amdhsa_exception_fp_ieee_inexact 0
		.amdhsa_exception_int_div_zero 0
	.end_amdhsa_kernel
	.text
.Lfunc_end0:
	.size	bluestein_single_fwd_len1568_dim1_dp_op_CI_CI, .Lfunc_end0-bluestein_single_fwd_len1568_dim1_dp_op_CI_CI
                                        ; -- End function
	.section	.AMDGPU.csdata,"",@progbits
; Kernel info:
; codeLenInByte = 11128
; NumSgprs: 40
; NumVgprs: 191
; ScratchSize: 0
; MemoryBound: 0
; FloatMode: 240
; IeeeMode: 1
; LDSByteSize: 25088 bytes/workgroup (compile time only)
; SGPRBlocks: 4
; VGPRBlocks: 47
; NumSGPRsForWavesPerEU: 40
; NumVGPRsForWavesPerEU: 191
; Occupancy: 1
; WaveLimiterHint : 1
; COMPUTE_PGM_RSRC2:SCRATCH_EN: 0
; COMPUTE_PGM_RSRC2:USER_SGPR: 6
; COMPUTE_PGM_RSRC2:TRAP_HANDLER: 0
; COMPUTE_PGM_RSRC2:TGID_X_EN: 1
; COMPUTE_PGM_RSRC2:TGID_Y_EN: 0
; COMPUTE_PGM_RSRC2:TGID_Z_EN: 0
; COMPUTE_PGM_RSRC2:TIDIG_COMP_CNT: 0
	.type	__hip_cuid_859708cb318dd676,@object ; @__hip_cuid_859708cb318dd676
	.section	.bss,"aw",@nobits
	.globl	__hip_cuid_859708cb318dd676
__hip_cuid_859708cb318dd676:
	.byte	0                               ; 0x0
	.size	__hip_cuid_859708cb318dd676, 1

	.ident	"AMD clang version 19.0.0git (https://github.com/RadeonOpenCompute/llvm-project roc-6.4.0 25133 c7fe45cf4b819c5991fe208aaa96edf142730f1d)"
	.section	".note.GNU-stack","",@progbits
	.addrsig
	.addrsig_sym __hip_cuid_859708cb318dd676
	.amdgpu_metadata
---
amdhsa.kernels:
  - .args:
      - .actual_access:  read_only
        .address_space:  global
        .offset:         0
        .size:           8
        .value_kind:     global_buffer
      - .actual_access:  read_only
        .address_space:  global
        .offset:         8
        .size:           8
        .value_kind:     global_buffer
      - .actual_access:  read_only
        .address_space:  global
        .offset:         16
        .size:           8
        .value_kind:     global_buffer
      - .actual_access:  read_only
        .address_space:  global
        .offset:         24
        .size:           8
        .value_kind:     global_buffer
      - .actual_access:  read_only
        .address_space:  global
        .offset:         32
        .size:           8
        .value_kind:     global_buffer
      - .offset:         40
        .size:           8
        .value_kind:     by_value
      - .address_space:  global
        .offset:         48
        .size:           8
        .value_kind:     global_buffer
      - .address_space:  global
        .offset:         56
        .size:           8
        .value_kind:     global_buffer
      - .address_space:  global
        .offset:         64
        .size:           8
        .value_kind:     global_buffer
      - .address_space:  global
        .offset:         72
        .size:           8
        .value_kind:     global_buffer
      - .offset:         80
        .size:           4
        .value_kind:     by_value
      - .address_space:  global
        .offset:         88
        .size:           8
        .value_kind:     global_buffer
      - .address_space:  global
        .offset:         96
        .size:           8
        .value_kind:     global_buffer
    .group_segment_fixed_size: 25088
    .kernarg_segment_align: 8
    .kernarg_segment_size: 104
    .language:       OpenCL C
    .language_version:
      - 2
      - 0
    .max_flat_workgroup_size: 224
    .name:           bluestein_single_fwd_len1568_dim1_dp_op_CI_CI
    .private_segment_fixed_size: 0
    .sgpr_count:     40
    .sgpr_spill_count: 0
    .symbol:         bluestein_single_fwd_len1568_dim1_dp_op_CI_CI.kd
    .uniform_work_group_size: 1
    .uses_dynamic_stack: false
    .vgpr_count:     191
    .vgpr_spill_count: 0
    .wavefront_size: 64
amdhsa.target:   amdgcn-amd-amdhsa--gfx906
amdhsa.version:
  - 1
  - 2
...

	.end_amdgpu_metadata
